;; amdgpu-corpus repo=ROCm/bitsandbytes kind=harvested arch=n/a opt=n/a
	.text
	.amdgcn_target "amdgcn-amd-amdhsa--gfx1100"
	.amdhsa_code_object_version 6
	.protected	_Z18kQuantizeBlockwiseI6__halfLi1024ELi4ELi0ELi1EEvPfPT_S1_PhS1_ii ; -- Begin function _Z18kQuantizeBlockwiseI6__halfLi1024ELi4ELi0ELi1EEvPfPT_S1_PhS1_ii
	.globl	_Z18kQuantizeBlockwiseI6__halfLi1024ELi4ELi0ELi1EEvPfPT_S1_PhS1_ii
	.p2align	8
	.type	_Z18kQuantizeBlockwiseI6__halfLi1024ELi4ELi0ELi1EEvPfPT_S1_PhS1_ii,@function
_Z18kQuantizeBlockwiseI6__halfLi1024ELi4ELi0ELi1EEvPfPT_S1_PhS1_ii: ; @_Z18kQuantizeBlockwiseI6__halfLi1024ELi4ELi0ELi1EEvPfPT_S1_PhS1_ii
; %bb.0:
	s_load_b32 s2, s[0:1], 0x30
	s_lshl_b32 s12, s15, 10
	s_waitcnt lgkmcnt(0)
	s_lshl_b32 s14, s2, 10
	s_delay_alu instid0(SALU_CYCLE_1)
	s_cmp_ge_i32 s12, s14
	s_cbranch_scc1 .LBB105_125
; %bb.1:
	s_load_b64 s[2:3], s[0:1], 0x8
	v_lshlrev_b32_e32 v1, 2, v0
	v_mbcnt_lo_u32_b32 v36, -1, 0
	s_clause 0x1
	s_load_b128 s[8:11], s[0:1], 0x10
	s_load_b32 s4, s[0:1], 0x2c
	v_dual_mov_b32 v39, 0 :: v_dual_and_b32 v2, 0x3e0, v0
	v_and_b32_e32 v1, 0xf80, v1
	v_lshlrev_b32_e32 v8, 1, v36
	v_lshrrev_b32_e32 v22, 3, v0
	s_delay_alu instid0(VALU_DEP_4)
	v_or_b32_e32 v33, v36, v2
	v_and_b32_e32 v32, 7, v36
	v_lshlrev_b32_e32 v9, 1, v1
	v_or_b32_e32 v3, v36, v1
	v_lshrrev_b32_e32 v1, 5, v1
	v_lshrrev_b32_e32 v11, 3, v33
	v_lshlrev_b32_e32 v13, 2, v33
	v_lshlrev_b32_e32 v29, 1, v0
	v_or_b32_e32 v4, 32, v3
	v_or_b32_e32 v5, 64, v3
	v_add_lshl_u32 v7, v1, v3, 1
	s_waitcnt lgkmcnt(0)
	v_add_co_u32 v8, s0, s2, v8
	s_delay_alu instid0(VALU_DEP_1) | instskip(SKIP_1) | instid1(VALU_DEP_3)
	v_add_co_ci_u32_e64 v10, null, s3, 0, s0
	v_and_b32_e32 v14, 0x7e, v11
	v_add_co_u32 v8, vcc_lo, v8, v9
	s_delay_alu instid0(VALU_DEP_3)
	v_add_co_ci_u32_e32 v9, vcc_lo, 0, v10, vcc_lo
	v_cmp_gt_u32_e32 vcc_lo, 30, v36
	v_add_lshl_u32 v10, v1, v4, 1
	v_lshrrev_b32_e32 v1, 5, v5
	v_add_lshl_u32 v13, v14, v13, 1
	v_or_b32_e32 v6, 0x60, v3
	v_cndmask_b32_e64 v15, 0, 1, vcc_lo
	v_cmp_ne_u32_e32 vcc_lo, 31, v36
	v_add_lshl_u32 v11, v1, v5, 1
	v_and_b32_e32 v37, 0x7c0, v29
	v_lshrrev_b32_e32 v12, 5, v6
	v_lshlrev_b32_e32 v1, 1, v15
	v_add_co_ci_u32_e32 v16, vcc_lo, 0, v36, vcc_lo
	v_cmp_gt_u32_e32 vcc_lo, 28, v36
	v_lshrrev_b32_e32 v31, 4, v0
	v_cmp_gt_u32_e64 s1, 8, v0
	s_delay_alu instid0(VALU_DEP_4)
	v_lshlrev_b32_e32 v14, 2, v16
	v_add_lshl_u32 v16, v1, v36, 2
	v_cndmask_b32_e64 v17, 0, 1, vcc_lo
	v_cmp_gt_u32_e32 vcc_lo, 24, v36
	v_cmp_eq_u32_e64 s2, 0, v0
	v_add_co_u32 v0, s3, s10, v36
	v_and_b32_e32 v12, 0x7e, v12
	v_cndmask_b32_e64 v1, 0, 1, vcc_lo
	v_cmp_gt_u32_e32 vcc_lo, 16, v36
	v_lshlrev_b32_e32 v18, 2, v17
	v_add_co_ci_u32_e64 v38, null, s11, 0, s3
	s_delay_alu instid0(VALU_DEP_4)
	v_lshlrev_b32_e32 v1, 3, v1
	v_cndmask_b32_e64 v19, 0, 1, vcc_lo
	v_cmp_ne_u32_e32 vcc_lo, 7, v32
	v_add_lshl_u32 v12, v12, v6, 1
	v_add_nc_u32_e32 v15, 1, v36
	v_add_lshl_u32 v20, v1, v36, 2
	v_and_b32_e32 v1, 0x7c, v22
	v_lshlrev_b32_e32 v23, 4, v19
	v_add_nc_u32_e32 v17, 2, v36
	v_add_lshl_u32 v18, v18, v36, 2
	v_add_nc_u32_e32 v19, 4, v36
	v_add_nc_u32_e32 v24, 0xa50, v1
	v_add_co_ci_u32_e32 v1, vcc_lo, 0, v36, vcc_lo
	v_cmp_gt_u32_e32 vcc_lo, 6, v32
	v_add_nc_u32_e32 v21, 8, v36
	v_add_lshl_u32 v22, v23, v36, 2
	s_delay_alu instid0(VALU_DEP_4)
	v_lshlrev_b32_e32 v27, 2, v1
	v_add_nc_u32_e32 v23, 16, v36
	v_cndmask_b32_e64 v28, 0, 1, vcc_lo
	v_cmp_gt_u32_e32 vcc_lo, 4, v32
	v_cmp_eq_u32_e64 s0, 0, v36
	v_lshl_add_u32 v25, v36, 2, 0xa50
	v_add_nc_u32_e32 v26, 1, v32
	v_lshlrev_b32_e32 v1, 1, v28
	v_cndmask_b32_e64 v30, 0, 1, vcc_lo
	v_add_nc_u32_e32 v28, 2, v32
	v_add_nc_u32_e32 v32, 4, v32
	s_sub_i32 s10, s4, s12
	v_add_lshl_u32 v29, v1, v36, 2
	v_lshlrev_b32_e32 v34, 2, v30
	v_or_b32_e32 v30, v36, v37
	v_and_b32_e32 v1, 60, v31
	v_add_co_u32 v37, vcc_lo, v0, v37
	s_delay_alu instid0(VALU_DEP_4) | instskip(NEXT) | instid1(VALU_DEP_4)
	v_add_lshl_u32 v31, v34, v36, 2
	v_or_b32_e32 v35, 32, v30
	s_delay_alu instid0(VALU_DEP_4) | instskip(SKIP_2) | instid1(VALU_DEP_4)
	v_lshl_add_u32 v33, v33, 1, v1
	v_add_nc_u32_e32 v34, v1, v30
	v_add_co_ci_u32_e32 v38, vcc_lo, 0, v38, vcc_lo
	v_add_nc_u32_e32 v36, v1, v35
	s_branch .LBB105_3
.LBB105_2:                              ;   in Loop: Header=BB105_3 Depth=1
	s_or_b32 exec_lo, exec_lo, s3
	s_add_i32 s12, s12, s14
	s_sub_i32 s10, s10, s14
	s_cmp_ge_i32 s12, s14
	s_cbranch_scc1 .LBB105_125
.LBB105_3:                              ; =>This Inner Loop Header: Depth=1
	s_ashr_i32 s13, s12, 31
	s_waitcnt lgkmcnt(0)
	v_mov_b32_e32 v40, 0
	s_lshl_b64 s[4:5], s[12:13], 1
	s_min_i32 s11, s10, 0x400
	v_add_co_u32 v0, vcc_lo, v8, s4
	v_add_co_ci_u32_e32 v1, vcc_lo, s5, v9, vcc_lo
	s_mov_b32 s3, exec_lo
	s_waitcnt_vscnt null, 0x0
	s_barrier
	buffer_gl0_inv
	v_cmpx_gt_u32_e64 s11, v3
	s_cbranch_execz .LBB105_5
; %bb.4:                                ;   in Loop: Header=BB105_3 Depth=1
	global_load_u16 v40, v[0:1], off
.LBB105_5:                              ;   in Loop: Header=BB105_3 Depth=1
	s_or_b32 exec_lo, exec_lo, s3
	v_dual_mov_b32 v41, 0 :: v_dual_mov_b32 v42, 0
	s_mov_b32 s3, exec_lo
	v_cmpx_gt_u32_e64 s11, v4
	s_cbranch_execz .LBB105_7
; %bb.6:                                ;   in Loop: Header=BB105_3 Depth=1
	global_load_u16 v42, v[0:1], off offset:64
.LBB105_7:                              ;   in Loop: Header=BB105_3 Depth=1
	s_or_b32 exec_lo, exec_lo, s3
	s_delay_alu instid0(SALU_CYCLE_1)
	s_mov_b32 s3, exec_lo
	v_cmpx_gt_u32_e64 s11, v5
	s_cbranch_execz .LBB105_9
; %bb.8:                                ;   in Loop: Header=BB105_3 Depth=1
	global_load_u16 v41, v[0:1], off offset:128
.LBB105_9:                              ;   in Loop: Header=BB105_3 Depth=1
	s_or_b32 exec_lo, exec_lo, s3
	v_mov_b32_e32 v43, 0
	s_mov_b32 s3, exec_lo
	v_cmpx_gt_u32_e64 s11, v6
	s_cbranch_execz .LBB105_11
; %bb.10:                               ;   in Loop: Header=BB105_3 Depth=1
	global_load_u16 v43, v[0:1], off offset:192
.LBB105_11:                             ;   in Loop: Header=BB105_3 Depth=1
	s_or_b32 exec_lo, exec_lo, s3
	s_waitcnt vmcnt(0)
	ds_store_b16 v7, v40
	ds_store_b16 v10, v42
	;; [unrolled: 1-line block ×4, first 2 shown]
	; wave barrier
	ds_load_b64 v[0:1], v13
	s_waitcnt lgkmcnt(0)
	v_lshrrev_b32_e32 v42, 16, v0
	v_lshrrev_b32_e32 v40, 16, v1
	v_cvt_f32_f16_e64 v41, |v0|
	v_cvt_f32_f16_e64 v44, |v1|
	s_delay_alu instid0(VALU_DEP_4) | instskip(NEXT) | instid1(VALU_DEP_4)
	v_cvt_f32_f16_e64 v43, |v42|
	v_cvt_f32_f16_e64 v45, |v40|
	s_delay_alu instid0(VALU_DEP_2) | instskip(NEXT) | instid1(VALU_DEP_1)
	v_max3_f32 v41, v41, 0xff7fffff, v43
	v_max3_f32 v41, v41, v44, v45
	v_sub_nc_u32_e64 v44, s11, v2 clamp
	ds_bpermute_b32 v43, v14, v41
	v_cmp_lt_u32_e64 s6, v23, v44
	s_waitcnt lgkmcnt(0)
	v_cmp_lt_f32_e32 vcc_lo, v41, v43
	v_cndmask_b32_e32 v43, v41, v43, vcc_lo
	v_cmp_lt_u32_e32 vcc_lo, v15, v44
	s_delay_alu instid0(VALU_DEP_2) | instskip(SKIP_3) | instid1(VALU_DEP_1)
	v_cndmask_b32_e32 v43, v41, v43, vcc_lo
	ds_bpermute_b32 v45, v16, v43
	s_waitcnt lgkmcnt(0)
	v_cmp_lt_f32_e64 s3, v43, v45
	v_cndmask_b32_e64 v45, v43, v45, s3
	v_cmp_lt_u32_e64 s3, v17, v44
	s_delay_alu instid0(VALU_DEP_1) | instskip(SKIP_4) | instid1(VALU_DEP_1)
	v_cndmask_b32_e64 v43, v43, v45, s3
	s_or_b32 s3, vcc_lo, s3
	ds_bpermute_b32 v45, v18, v43
	s_waitcnt lgkmcnt(0)
	v_cmp_lt_f32_e64 s4, v43, v45
	v_cndmask_b32_e64 v45, v43, v45, s4
	v_cmp_lt_u32_e64 s4, v19, v44
	s_delay_alu instid0(VALU_DEP_1) | instskip(SKIP_4) | instid1(VALU_DEP_1)
	v_cndmask_b32_e64 v43, v43, v45, s4
	s_or_b32 s3, s4, s3
	ds_bpermute_b32 v45, v20, v43
	s_waitcnt lgkmcnt(0)
	v_cmp_lt_f32_e64 s5, v43, v45
	v_cndmask_b32_e64 v45, v43, v45, s5
	v_cmp_lt_u32_e64 s5, v21, v44
	s_delay_alu instid0(VALU_DEP_1) | instskip(SKIP_4) | instid1(VALU_DEP_1)
	v_cndmask_b32_e64 v43, v43, v45, s5
	s_or_b32 s3, s5, s3
	ds_bpermute_b32 v45, v22, v43
	s_waitcnt lgkmcnt(0)
	v_cmp_lt_f32_e64 s7, v43, v45
	s_and_b32 vcc_lo, s6, s7
	v_cndmask_b32_e32 v43, v43, v45, vcc_lo
	s_or_b32 vcc_lo, s6, s3
	s_delay_alu instid0(VALU_DEP_1)
	v_cndmask_b32_e32 v41, v41, v43, vcc_lo
	s_and_saveexec_b32 s3, s0
	s_cbranch_execz .LBB105_13
; %bb.12:                               ;   in Loop: Header=BB105_3 Depth=1
	ds_store_b32 v24, v41
.LBB105_13:                             ;   in Loop: Header=BB105_3 Depth=1
	s_or_b32 exec_lo, exec_lo, s3
	s_waitcnt lgkmcnt(0)
	s_barrier
	buffer_gl0_inv
	s_and_saveexec_b32 s5, s1
	s_cbranch_execz .LBB105_15
; %bb.14:                               ;   in Loop: Header=BB105_3 Depth=1
	ds_load_b32 v41, v25
	s_add_i32 s3, s11, 31
	s_delay_alu instid0(SALU_CYCLE_1)
	s_lshr_b32 s4, s3, 5
	s_waitcnt lgkmcnt(0)
	ds_bpermute_b32 v43, v27, v41
	s_waitcnt lgkmcnt(0)
	v_cmp_lt_f32_e32 vcc_lo, v41, v43
	v_cndmask_b32_e32 v43, v41, v43, vcc_lo
	v_cmp_gt_u32_e32 vcc_lo, s4, v26
	s_delay_alu instid0(VALU_DEP_2) | instskip(SKIP_3) | instid1(VALU_DEP_1)
	v_cndmask_b32_e32 v44, v41, v43, vcc_lo
	ds_bpermute_b32 v45, v29, v44
	s_waitcnt lgkmcnt(0)
	v_cmp_lt_f32_e64 s3, v44, v45
	v_cndmask_b32_e64 v45, v44, v45, s3
	v_cmp_gt_u32_e64 s3, s4, v28
	s_delay_alu instid0(VALU_DEP_1)
	v_cndmask_b32_e64 v44, v44, v45, s3
	v_cndmask_b32_e64 v43, v43, v45, s3
	v_cmp_gt_u32_e64 s3, s4, v32
	ds_bpermute_b32 v44, v31, v44
	s_waitcnt lgkmcnt(0)
	v_cmp_lt_f32_e64 s4, v43, v44
	s_delay_alu instid0(VALU_DEP_1) | instskip(NEXT) | instid1(SALU_CYCLE_1)
	s_and_b32 s3, s3, s4
	v_cndmask_b32_e64 v43, v43, v44, s3
	s_delay_alu instid0(VALU_DEP_1)
	v_cndmask_b32_e32 v41, v41, v43, vcc_lo
.LBB105_15:                             ;   in Loop: Header=BB105_3 Depth=1
	s_or_b32 exec_lo, exec_lo, s5
	s_and_saveexec_b32 s3, s2
	s_cbranch_execz .LBB105_17
; %bb.16:                               ;   in Loop: Header=BB105_3 Depth=1
	s_delay_alu instid0(VALU_DEP_1) | instskip(SKIP_2) | instid1(VALU_DEP_2)
	v_div_scale_f32 v43, null, v41, v41, 1.0
	v_div_scale_f32 v46, vcc_lo, 1.0, v41, 1.0
	s_ashr_i32 s4, s12, 10
	v_rcp_f32_e32 v44, v43
	s_ashr_i32 s5, s4, 31
	s_delay_alu instid0(SALU_CYCLE_1) | instskip(NEXT) | instid1(SALU_CYCLE_1)
	s_lshl_b64 s[4:5], s[4:5], 2
	s_add_u32 s4, s8, s4
	s_addc_u32 s5, s9, s5
	global_store_b32 v39, v41, s[4:5]
	v_fma_f32 v45, -v43, v44, 1.0
	s_delay_alu instid0(VALU_DEP_1) | instskip(NEXT) | instid1(VALU_DEP_1)
	v_fmac_f32_e32 v44, v45, v44
	v_mul_f32_e32 v45, v46, v44
	s_delay_alu instid0(VALU_DEP_1) | instskip(NEXT) | instid1(VALU_DEP_1)
	v_fma_f32 v47, -v43, v45, v46
	v_fmac_f32_e32 v45, v47, v44
	s_delay_alu instid0(VALU_DEP_1) | instskip(NEXT) | instid1(VALU_DEP_1)
	v_fma_f32 v43, -v43, v45, v46
	v_div_fmas_f32 v43, v43, v44, v45
	s_delay_alu instid0(VALU_DEP_1)
	v_div_fixup_f32 v43, v43, v41, 1.0
	ds_store_b32 v39, v43 offset:2672
.LBB105_17:                             ;   in Loop: Header=BB105_3 Depth=1
	s_or_b32 exec_lo, exec_lo, s3
	s_waitcnt lgkmcnt(0)
	s_waitcnt_vscnt null, 0x0
	s_barrier
	buffer_gl0_inv
	ds_load_b32 v41, v39 offset:2672
	v_cvt_f32_f16_e32 v0, v0
	s_waitcnt lgkmcnt(0)
	s_delay_alu instid0(VALU_DEP_1) | instskip(NEXT) | instid1(VALU_DEP_1)
	v_mul_f32_e32 v43, v41, v0
	v_cmp_gt_f32_e32 vcc_lo, 0, v43
	v_cmp_nlt_f32_e64 s3, 0x3e955555, |v43|
	v_cndmask_b32_e64 v0, 0, 1, vcc_lo
	s_delay_alu instid0(VALU_DEP_1) | instskip(NEXT) | instid1(VALU_DEP_3)
	v_lshlrev_b16 v0, 3, v0
	s_and_saveexec_b32 s4, s3
	s_delay_alu instid0(SALU_CYCLE_1)
	s_xor_b32 s3, exec_lo, s4
	s_cbranch_execz .LBB105_29
; %bb.18:                               ;   in Loop: Header=BB105_3 Depth=1
	v_cmp_nlt_f32_e64 s4, 0x3db00000, |v43|
	s_delay_alu instid0(VALU_DEP_1) | instskip(NEXT) | instid1(SALU_CYCLE_1)
	s_and_saveexec_b32 s5, s4
	s_xor_b32 s4, exec_lo, s5
	s_cbranch_execz .LBB105_22
; %bb.19:                               ;   in Loop: Header=BB105_3 Depth=1
	s_mov_b32 s5, exec_lo
	v_cmpx_lt_f32_e64 0x3b2aaab9, |v43|
; %bb.20:                               ;   in Loop: Header=BB105_3 Depth=1
	v_or_b32_e32 v0, 1, v0
; %bb.21:                               ;   in Loop: Header=BB105_3 Depth=1
	s_or_b32 exec_lo, exec_lo, s5
                                        ; implicit-def: $vgpr43
.LBB105_22:                             ;   in Loop: Header=BB105_3 Depth=1
	s_and_not1_saveexec_b32 s4, s4
	s_cbranch_execz .LBB105_28
; %bb.23:                               ;   in Loop: Header=BB105_3 Depth=1
	v_cmp_nlt_f32_e64 s5, 0x3e555555, |v43|
	s_delay_alu instid0(VALU_DEP_1) | instskip(NEXT) | instid1(SALU_CYCLE_1)
	s_and_saveexec_b32 s6, s5
	s_xor_b32 s5, exec_lo, s6
; %bb.24:                               ;   in Loop: Header=BB105_3 Depth=1
	v_or_b32_e32 v0, 6, v0
; %bb.25:                               ;   in Loop: Header=BB105_3 Depth=1
	s_and_not1_saveexec_b32 s5, s5
; %bb.26:                               ;   in Loop: Header=BB105_3 Depth=1
	s_delay_alu instid0(VALU_DEP_1)
	v_or_b32_e32 v0, 7, v0
; %bb.27:                               ;   in Loop: Header=BB105_3 Depth=1
	s_or_b32 exec_lo, exec_lo, s5
.LBB105_28:                             ;   in Loop: Header=BB105_3 Depth=1
	s_delay_alu instid0(SALU_CYCLE_1)
	s_or_b32 exec_lo, exec_lo, s4
                                        ; implicit-def: $vgpr43
.LBB105_29:                             ;   in Loop: Header=BB105_3 Depth=1
	s_and_not1_saveexec_b32 s3, s3
	s_cbranch_execz .LBB105_43
; %bb.30:                               ;   in Loop: Header=BB105_3 Depth=1
	v_cmp_nlt_f32_e64 s4, 0x3f155550, |v43|
	s_delay_alu instid0(VALU_DEP_1) | instskip(NEXT) | instid1(SALU_CYCLE_1)
	s_and_saveexec_b32 s5, s4
	s_xor_b32 s4, exec_lo, s5
	s_cbranch_execz .LBB105_36
; %bb.31:                               ;   in Loop: Header=BB105_3 Depth=1
	v_cmp_nlt_f32_e64 s5, 0x3ed55556, |v43|
	s_delay_alu instid0(VALU_DEP_1) | instskip(NEXT) | instid1(SALU_CYCLE_1)
	s_and_saveexec_b32 s6, s5
	s_xor_b32 s5, exec_lo, s6
; %bb.32:                               ;   in Loop: Header=BB105_3 Depth=1
	v_or_b32_e32 v0, 4, v0
; %bb.33:                               ;   in Loop: Header=BB105_3 Depth=1
	s_and_not1_saveexec_b32 s5, s5
; %bb.34:                               ;   in Loop: Header=BB105_3 Depth=1
	s_delay_alu instid0(VALU_DEP_1)
	v_or_b32_e32 v0, 5, v0
; %bb.35:                               ;   in Loop: Header=BB105_3 Depth=1
	s_or_b32 exec_lo, exec_lo, s5
                                        ; implicit-def: $vgpr43
.LBB105_36:                             ;   in Loop: Header=BB105_3 Depth=1
	s_and_not1_saveexec_b32 s4, s4
	s_cbranch_execz .LBB105_42
; %bb.37:                               ;   in Loop: Header=BB105_3 Depth=1
	v_cmp_nlt_f32_e64 s5, 0x3f555555, |v43|
	s_delay_alu instid0(VALU_DEP_1) | instskip(NEXT) | instid1(SALU_CYCLE_1)
	s_and_saveexec_b32 s6, s5
	s_xor_b32 s5, exec_lo, s6
; %bb.38:                               ;   in Loop: Header=BB105_3 Depth=1
	v_or_b32_e32 v0, 2, v0
; %bb.39:                               ;   in Loop: Header=BB105_3 Depth=1
	s_and_not1_saveexec_b32 s5, s5
; %bb.40:                               ;   in Loop: Header=BB105_3 Depth=1
	s_delay_alu instid0(VALU_DEP_1)
	v_or_b32_e32 v0, 3, v0
; %bb.41:                               ;   in Loop: Header=BB105_3 Depth=1
	s_or_b32 exec_lo, exec_lo, s5
.LBB105_42:                             ;   in Loop: Header=BB105_3 Depth=1
	s_delay_alu instid0(SALU_CYCLE_1)
	s_or_b32 exec_lo, exec_lo, s4
.LBB105_43:                             ;   in Loop: Header=BB105_3 Depth=1
	s_delay_alu instid0(SALU_CYCLE_1) | instskip(SKIP_1) | instid1(VALU_DEP_1)
	s_or_b32 exec_lo, exec_lo, s3
	v_cvt_f32_f16_e32 v42, v42
	v_mul_f32_e32 v43, v41, v42
	s_delay_alu instid0(VALU_DEP_1) | instskip(SKIP_2) | instid1(VALU_DEP_1)
	v_cmp_gt_f32_e32 vcc_lo, 0, v43
	v_cmp_nlt_f32_e64 s3, 0x3e955555, |v43|
	v_cndmask_b32_e64 v42, 0, 1, vcc_lo
	v_lshlrev_b16 v42, 3, v42
	s_delay_alu instid0(VALU_DEP_3) | instskip(NEXT) | instid1(SALU_CYCLE_1)
	s_and_saveexec_b32 s4, s3
	s_xor_b32 s3, exec_lo, s4
	s_cbranch_execz .LBB105_55
; %bb.44:                               ;   in Loop: Header=BB105_3 Depth=1
	v_cmp_nlt_f32_e64 s4, 0x3db00000, |v43|
	s_delay_alu instid0(VALU_DEP_1) | instskip(NEXT) | instid1(SALU_CYCLE_1)
	s_and_saveexec_b32 s5, s4
	s_xor_b32 s4, exec_lo, s5
	s_cbranch_execz .LBB105_48
; %bb.45:                               ;   in Loop: Header=BB105_3 Depth=1
	s_mov_b32 s5, exec_lo
	v_cmpx_lt_f32_e64 0x3b2aaab9, |v43|
; %bb.46:                               ;   in Loop: Header=BB105_3 Depth=1
	v_or_b32_e32 v42, 1, v42
; %bb.47:                               ;   in Loop: Header=BB105_3 Depth=1
	s_or_b32 exec_lo, exec_lo, s5
                                        ; implicit-def: $vgpr43
.LBB105_48:                             ;   in Loop: Header=BB105_3 Depth=1
	s_and_not1_saveexec_b32 s4, s4
	s_cbranch_execz .LBB105_54
; %bb.49:                               ;   in Loop: Header=BB105_3 Depth=1
	v_cmp_nlt_f32_e64 s5, 0x3e555555, |v43|
	s_delay_alu instid0(VALU_DEP_1) | instskip(NEXT) | instid1(SALU_CYCLE_1)
	s_and_saveexec_b32 s6, s5
	s_xor_b32 s5, exec_lo, s6
; %bb.50:                               ;   in Loop: Header=BB105_3 Depth=1
	v_or_b32_e32 v42, 6, v42
; %bb.51:                               ;   in Loop: Header=BB105_3 Depth=1
	s_and_not1_saveexec_b32 s5, s5
; %bb.52:                               ;   in Loop: Header=BB105_3 Depth=1
	s_delay_alu instid0(VALU_DEP_1)
	v_or_b32_e32 v42, 7, v42
; %bb.53:                               ;   in Loop: Header=BB105_3 Depth=1
	s_or_b32 exec_lo, exec_lo, s5
.LBB105_54:                             ;   in Loop: Header=BB105_3 Depth=1
	s_delay_alu instid0(SALU_CYCLE_1)
	s_or_b32 exec_lo, exec_lo, s4
                                        ; implicit-def: $vgpr43
.LBB105_55:                             ;   in Loop: Header=BB105_3 Depth=1
	s_and_not1_saveexec_b32 s3, s3
	s_cbranch_execz .LBB105_69
; %bb.56:                               ;   in Loop: Header=BB105_3 Depth=1
	v_cmp_nlt_f32_e64 s4, 0x3f155550, |v43|
	s_delay_alu instid0(VALU_DEP_1) | instskip(NEXT) | instid1(SALU_CYCLE_1)
	s_and_saveexec_b32 s5, s4
	s_xor_b32 s4, exec_lo, s5
	s_cbranch_execz .LBB105_62
; %bb.57:                               ;   in Loop: Header=BB105_3 Depth=1
	v_cmp_nlt_f32_e64 s5, 0x3ed55556, |v43|
	s_delay_alu instid0(VALU_DEP_1) | instskip(NEXT) | instid1(SALU_CYCLE_1)
	s_and_saveexec_b32 s6, s5
	s_xor_b32 s5, exec_lo, s6
; %bb.58:                               ;   in Loop: Header=BB105_3 Depth=1
	v_or_b32_e32 v42, 4, v42
; %bb.59:                               ;   in Loop: Header=BB105_3 Depth=1
	s_and_not1_saveexec_b32 s5, s5
; %bb.60:                               ;   in Loop: Header=BB105_3 Depth=1
	s_delay_alu instid0(VALU_DEP_1)
	v_or_b32_e32 v42, 5, v42
; %bb.61:                               ;   in Loop: Header=BB105_3 Depth=1
	s_or_b32 exec_lo, exec_lo, s5
                                        ; implicit-def: $vgpr43
.LBB105_62:                             ;   in Loop: Header=BB105_3 Depth=1
	s_and_not1_saveexec_b32 s4, s4
	s_cbranch_execz .LBB105_68
; %bb.63:                               ;   in Loop: Header=BB105_3 Depth=1
	v_cmp_nlt_f32_e64 s5, 0x3f555555, |v43|
	s_delay_alu instid0(VALU_DEP_1) | instskip(NEXT) | instid1(SALU_CYCLE_1)
	s_and_saveexec_b32 s6, s5
	s_xor_b32 s5, exec_lo, s6
; %bb.64:                               ;   in Loop: Header=BB105_3 Depth=1
	v_or_b32_e32 v42, 2, v42
; %bb.65:                               ;   in Loop: Header=BB105_3 Depth=1
	s_and_not1_saveexec_b32 s5, s5
; %bb.66:                               ;   in Loop: Header=BB105_3 Depth=1
	s_delay_alu instid0(VALU_DEP_1)
	v_or_b32_e32 v42, 3, v42
; %bb.67:                               ;   in Loop: Header=BB105_3 Depth=1
	s_or_b32 exec_lo, exec_lo, s5
.LBB105_68:                             ;   in Loop: Header=BB105_3 Depth=1
	s_delay_alu instid0(SALU_CYCLE_1)
	s_or_b32 exec_lo, exec_lo, s4
.LBB105_69:                             ;   in Loop: Header=BB105_3 Depth=1
	s_delay_alu instid0(SALU_CYCLE_1) | instskip(SKIP_1) | instid1(VALU_DEP_1)
	s_or_b32 exec_lo, exec_lo, s3
	v_cvt_f32_f16_e32 v1, v1
	v_mul_f32_e32 v43, v41, v1
	s_delay_alu instid0(VALU_DEP_1) | instskip(SKIP_2) | instid1(VALU_DEP_1)
	v_cmp_gt_f32_e32 vcc_lo, 0, v43
	v_cmp_nlt_f32_e64 s3, 0x3e955555, |v43|
	v_cndmask_b32_e64 v1, 0, 1, vcc_lo
	v_lshlrev_b16 v1, 3, v1
	s_delay_alu instid0(VALU_DEP_3) | instskip(NEXT) | instid1(SALU_CYCLE_1)
	s_and_saveexec_b32 s4, s3
	s_xor_b32 s3, exec_lo, s4
	s_cbranch_execz .LBB105_81
; %bb.70:                               ;   in Loop: Header=BB105_3 Depth=1
	v_cmp_nlt_f32_e64 s4, 0x3db00000, |v43|
	s_delay_alu instid0(VALU_DEP_1) | instskip(NEXT) | instid1(SALU_CYCLE_1)
	s_and_saveexec_b32 s5, s4
	s_xor_b32 s4, exec_lo, s5
	s_cbranch_execz .LBB105_74
; %bb.71:                               ;   in Loop: Header=BB105_3 Depth=1
	s_mov_b32 s5, exec_lo
	v_cmpx_lt_f32_e64 0x3b2aaab9, |v43|
; %bb.72:                               ;   in Loop: Header=BB105_3 Depth=1
	v_or_b32_e32 v1, 1, v1
; %bb.73:                               ;   in Loop: Header=BB105_3 Depth=1
	s_or_b32 exec_lo, exec_lo, s5
                                        ; implicit-def: $vgpr43
.LBB105_74:                             ;   in Loop: Header=BB105_3 Depth=1
	s_and_not1_saveexec_b32 s4, s4
	s_cbranch_execz .LBB105_80
; %bb.75:                               ;   in Loop: Header=BB105_3 Depth=1
	v_cmp_nlt_f32_e64 s5, 0x3e555555, |v43|
	s_delay_alu instid0(VALU_DEP_1) | instskip(NEXT) | instid1(SALU_CYCLE_1)
	s_and_saveexec_b32 s6, s5
	s_xor_b32 s5, exec_lo, s6
; %bb.76:                               ;   in Loop: Header=BB105_3 Depth=1
	v_or_b32_e32 v1, 6, v1
; %bb.77:                               ;   in Loop: Header=BB105_3 Depth=1
	s_and_not1_saveexec_b32 s5, s5
; %bb.78:                               ;   in Loop: Header=BB105_3 Depth=1
	s_delay_alu instid0(VALU_DEP_1)
	v_or_b32_e32 v1, 7, v1
; %bb.79:                               ;   in Loop: Header=BB105_3 Depth=1
	s_or_b32 exec_lo, exec_lo, s5
.LBB105_80:                             ;   in Loop: Header=BB105_3 Depth=1
	s_delay_alu instid0(SALU_CYCLE_1)
	s_or_b32 exec_lo, exec_lo, s4
                                        ; implicit-def: $vgpr43
.LBB105_81:                             ;   in Loop: Header=BB105_3 Depth=1
	s_and_not1_saveexec_b32 s3, s3
	s_cbranch_execz .LBB105_95
; %bb.82:                               ;   in Loop: Header=BB105_3 Depth=1
	v_cmp_nlt_f32_e64 s4, 0x3f155550, |v43|
	s_delay_alu instid0(VALU_DEP_1) | instskip(NEXT) | instid1(SALU_CYCLE_1)
	s_and_saveexec_b32 s5, s4
	s_xor_b32 s4, exec_lo, s5
	s_cbranch_execz .LBB105_88
; %bb.83:                               ;   in Loop: Header=BB105_3 Depth=1
	v_cmp_nlt_f32_e64 s5, 0x3ed55556, |v43|
	s_delay_alu instid0(VALU_DEP_1) | instskip(NEXT) | instid1(SALU_CYCLE_1)
	s_and_saveexec_b32 s6, s5
	s_xor_b32 s5, exec_lo, s6
; %bb.84:                               ;   in Loop: Header=BB105_3 Depth=1
	v_or_b32_e32 v1, 4, v1
; %bb.85:                               ;   in Loop: Header=BB105_3 Depth=1
	s_and_not1_saveexec_b32 s5, s5
; %bb.86:                               ;   in Loop: Header=BB105_3 Depth=1
	s_delay_alu instid0(VALU_DEP_1)
	v_or_b32_e32 v1, 5, v1
; %bb.87:                               ;   in Loop: Header=BB105_3 Depth=1
	s_or_b32 exec_lo, exec_lo, s5
                                        ; implicit-def: $vgpr43
.LBB105_88:                             ;   in Loop: Header=BB105_3 Depth=1
	s_and_not1_saveexec_b32 s4, s4
	s_cbranch_execz .LBB105_94
; %bb.89:                               ;   in Loop: Header=BB105_3 Depth=1
	v_cmp_nlt_f32_e64 s5, 0x3f555555, |v43|
	s_delay_alu instid0(VALU_DEP_1) | instskip(NEXT) | instid1(SALU_CYCLE_1)
	s_and_saveexec_b32 s6, s5
	s_xor_b32 s5, exec_lo, s6
; %bb.90:                               ;   in Loop: Header=BB105_3 Depth=1
	v_or_b32_e32 v1, 2, v1
; %bb.91:                               ;   in Loop: Header=BB105_3 Depth=1
	s_and_not1_saveexec_b32 s5, s5
; %bb.92:                               ;   in Loop: Header=BB105_3 Depth=1
	s_delay_alu instid0(VALU_DEP_1)
	v_or_b32_e32 v1, 3, v1
; %bb.93:                               ;   in Loop: Header=BB105_3 Depth=1
	s_or_b32 exec_lo, exec_lo, s5
.LBB105_94:                             ;   in Loop: Header=BB105_3 Depth=1
	s_delay_alu instid0(SALU_CYCLE_1)
	s_or_b32 exec_lo, exec_lo, s4
.LBB105_95:                             ;   in Loop: Header=BB105_3 Depth=1
	s_delay_alu instid0(SALU_CYCLE_1) | instskip(SKIP_1) | instid1(VALU_DEP_1)
	s_or_b32 exec_lo, exec_lo, s3
	v_cvt_f32_f16_e32 v40, v40
	v_mul_f32_e32 v41, v41, v40
	s_delay_alu instid0(VALU_DEP_1) | instskip(SKIP_2) | instid1(VALU_DEP_1)
	v_cmp_gt_f32_e32 vcc_lo, 0, v41
	v_cmp_nlt_f32_e64 s3, 0x3e955555, |v41|
	v_cndmask_b32_e64 v40, 0, 1, vcc_lo
	v_lshlrev_b16 v40, 3, v40
	s_delay_alu instid0(VALU_DEP_3) | instskip(NEXT) | instid1(SALU_CYCLE_1)
	s_and_saveexec_b32 s4, s3
	s_xor_b32 s3, exec_lo, s4
	s_cbranch_execz .LBB105_107
; %bb.96:                               ;   in Loop: Header=BB105_3 Depth=1
	v_cmp_nlt_f32_e64 s4, 0x3db00000, |v41|
	s_delay_alu instid0(VALU_DEP_1) | instskip(NEXT) | instid1(SALU_CYCLE_1)
	s_and_saveexec_b32 s5, s4
	s_xor_b32 s4, exec_lo, s5
	s_cbranch_execz .LBB105_100
; %bb.97:                               ;   in Loop: Header=BB105_3 Depth=1
	s_mov_b32 s5, exec_lo
	v_cmpx_lt_f32_e64 0x3b2aaab9, |v41|
; %bb.98:                               ;   in Loop: Header=BB105_3 Depth=1
	v_or_b32_e32 v40, 1, v40
; %bb.99:                               ;   in Loop: Header=BB105_3 Depth=1
	s_or_b32 exec_lo, exec_lo, s5
                                        ; implicit-def: $vgpr41
.LBB105_100:                            ;   in Loop: Header=BB105_3 Depth=1
	s_and_not1_saveexec_b32 s4, s4
	s_cbranch_execz .LBB105_106
; %bb.101:                              ;   in Loop: Header=BB105_3 Depth=1
	v_cmp_nlt_f32_e64 s5, 0x3e555555, |v41|
	s_delay_alu instid0(VALU_DEP_1) | instskip(NEXT) | instid1(SALU_CYCLE_1)
	s_and_saveexec_b32 s6, s5
	s_xor_b32 s5, exec_lo, s6
; %bb.102:                              ;   in Loop: Header=BB105_3 Depth=1
	v_or_b32_e32 v40, 6, v40
; %bb.103:                              ;   in Loop: Header=BB105_3 Depth=1
	s_and_not1_saveexec_b32 s5, s5
; %bb.104:                              ;   in Loop: Header=BB105_3 Depth=1
	s_delay_alu instid0(VALU_DEP_1)
	v_or_b32_e32 v40, 7, v40
; %bb.105:                              ;   in Loop: Header=BB105_3 Depth=1
	s_or_b32 exec_lo, exec_lo, s5
.LBB105_106:                            ;   in Loop: Header=BB105_3 Depth=1
	s_delay_alu instid0(SALU_CYCLE_1)
	s_or_b32 exec_lo, exec_lo, s4
                                        ; implicit-def: $vgpr41
.LBB105_107:                            ;   in Loop: Header=BB105_3 Depth=1
	s_and_not1_saveexec_b32 s3, s3
	s_cbranch_execz .LBB105_121
; %bb.108:                              ;   in Loop: Header=BB105_3 Depth=1
	v_cmp_nlt_f32_e64 s4, 0x3f155550, |v41|
	s_delay_alu instid0(VALU_DEP_1) | instskip(NEXT) | instid1(SALU_CYCLE_1)
	s_and_saveexec_b32 s5, s4
	s_xor_b32 s4, exec_lo, s5
	s_cbranch_execz .LBB105_114
; %bb.109:                              ;   in Loop: Header=BB105_3 Depth=1
	v_cmp_nlt_f32_e64 s5, 0x3ed55556, |v41|
	s_delay_alu instid0(VALU_DEP_1) | instskip(NEXT) | instid1(SALU_CYCLE_1)
	s_and_saveexec_b32 s6, s5
	s_xor_b32 s5, exec_lo, s6
; %bb.110:                              ;   in Loop: Header=BB105_3 Depth=1
	v_or_b32_e32 v40, 4, v40
; %bb.111:                              ;   in Loop: Header=BB105_3 Depth=1
	s_and_not1_saveexec_b32 s5, s5
; %bb.112:                              ;   in Loop: Header=BB105_3 Depth=1
	s_delay_alu instid0(VALU_DEP_1)
	v_or_b32_e32 v40, 5, v40
; %bb.113:                              ;   in Loop: Header=BB105_3 Depth=1
	s_or_b32 exec_lo, exec_lo, s5
                                        ; implicit-def: $vgpr41
.LBB105_114:                            ;   in Loop: Header=BB105_3 Depth=1
	s_and_not1_saveexec_b32 s4, s4
	s_cbranch_execz .LBB105_120
; %bb.115:                              ;   in Loop: Header=BB105_3 Depth=1
	v_cmp_nlt_f32_e64 s5, 0x3f555555, |v41|
	s_delay_alu instid0(VALU_DEP_1) | instskip(NEXT) | instid1(SALU_CYCLE_1)
	s_and_saveexec_b32 s6, s5
	s_xor_b32 s5, exec_lo, s6
; %bb.116:                              ;   in Loop: Header=BB105_3 Depth=1
	v_or_b32_e32 v40, 2, v40
; %bb.117:                              ;   in Loop: Header=BB105_3 Depth=1
	s_and_not1_saveexec_b32 s5, s5
; %bb.118:                              ;   in Loop: Header=BB105_3 Depth=1
	s_delay_alu instid0(VALU_DEP_1)
	v_or_b32_e32 v40, 3, v40
; %bb.119:                              ;   in Loop: Header=BB105_3 Depth=1
	s_or_b32 exec_lo, exec_lo, s5
.LBB105_120:                            ;   in Loop: Header=BB105_3 Depth=1
	s_delay_alu instid0(SALU_CYCLE_1)
	s_or_b32 exec_lo, exec_lo, s4
.LBB105_121:                            ;   in Loop: Header=BB105_3 Depth=1
	s_delay_alu instid0(SALU_CYCLE_1)
	s_or_b32 exec_lo, exec_lo, s3
	v_lshlrev_b16 v0, 4, v0
	v_lshlrev_b16 v1, 4, v1
	s_barrier
	buffer_gl0_inv
	v_or_b32_e32 v0, v42, v0
	v_or_b32_e32 v1, v40, v1
	s_add_i32 s3, s11, 1
	s_ashr_i32 s5, s12, 1
	s_lshr_b32 s4, s3, 31
	ds_store_b8 v33, v0 offset:2112
	ds_store_b8 v33, v1 offset:2113
	; wave barrier
	ds_load_u8 v40, v36 offset:2112
	s_add_i32 s3, s3, s4
	s_ashr_i32 s4, s5, 31
	v_add_co_u32 v0, vcc_lo, v37, s5
	v_add_co_ci_u32_e32 v1, vcc_lo, s4, v38, vcc_lo
	s_ashr_i32 s3, s3, 1
	s_mov_b32 s4, exec_lo
	v_cmpx_gt_u32_e64 s3, v30
	s_xor_b32 s4, exec_lo, s4
	s_cbranch_execz .LBB105_123
; %bb.122:                              ;   in Loop: Header=BB105_3 Depth=1
	ds_load_u8 v41, v34 offset:2112
	s_waitcnt lgkmcnt(0)
	global_store_b8 v[0:1], v41, off
.LBB105_123:                            ;   in Loop: Header=BB105_3 Depth=1
	s_or_b32 exec_lo, exec_lo, s4
	v_cmp_gt_u32_e32 vcc_lo, s3, v35
	s_and_saveexec_b32 s3, vcc_lo
	s_cbranch_execz .LBB105_2
; %bb.124:                              ;   in Loop: Header=BB105_3 Depth=1
	s_waitcnt lgkmcnt(0)
	global_store_b8 v[0:1], v40, off offset:32
	s_branch .LBB105_2
.LBB105_125:
	s_nop 0
	s_sendmsg sendmsg(MSG_DEALLOC_VGPRS)
	s_endpgm
	.section	.rodata,"a",@progbits
	.p2align	6, 0x0
	.amdhsa_kernel _Z18kQuantizeBlockwiseI6__halfLi1024ELi4ELi0ELi1EEvPfPT_S1_PhS1_ii
		.amdhsa_group_segment_fixed_size 2676
		.amdhsa_private_segment_fixed_size 0
		.amdhsa_kernarg_size 304
		.amdhsa_user_sgpr_count 15
		.amdhsa_user_sgpr_dispatch_ptr 0
		.amdhsa_user_sgpr_queue_ptr 0
		.amdhsa_user_sgpr_kernarg_segment_ptr 1
		.amdhsa_user_sgpr_dispatch_id 0
		.amdhsa_user_sgpr_private_segment_size 0
		.amdhsa_wavefront_size32 1
		.amdhsa_uses_dynamic_stack 0
		.amdhsa_enable_private_segment 0
		.amdhsa_system_sgpr_workgroup_id_x 1
		.amdhsa_system_sgpr_workgroup_id_y 0
		.amdhsa_system_sgpr_workgroup_id_z 0
		.amdhsa_system_sgpr_workgroup_info 0
		.amdhsa_system_vgpr_workitem_id 0
		.amdhsa_next_free_vgpr 48
		.amdhsa_next_free_sgpr 16
		.amdhsa_reserve_vcc 1
		.amdhsa_float_round_mode_32 0
		.amdhsa_float_round_mode_16_64 0
		.amdhsa_float_denorm_mode_32 3
		.amdhsa_float_denorm_mode_16_64 3
		.amdhsa_dx10_clamp 1
		.amdhsa_ieee_mode 1
		.amdhsa_fp16_overflow 0
		.amdhsa_workgroup_processor_mode 1
		.amdhsa_memory_ordered 1
		.amdhsa_forward_progress 0
		.amdhsa_shared_vgpr_count 0
		.amdhsa_exception_fp_ieee_invalid_op 0
		.amdhsa_exception_fp_denorm_src 0
		.amdhsa_exception_fp_ieee_div_zero 0
		.amdhsa_exception_fp_ieee_overflow 0
		.amdhsa_exception_fp_ieee_underflow 0
		.amdhsa_exception_fp_ieee_inexact 0
		.amdhsa_exception_int_div_zero 0
	.end_amdhsa_kernel
	.section	.text._Z18kQuantizeBlockwiseI6__halfLi1024ELi4ELi0ELi1EEvPfPT_S1_PhS1_ii,"axG",@progbits,_Z18kQuantizeBlockwiseI6__halfLi1024ELi4ELi0ELi1EEvPfPT_S1_PhS1_ii,comdat
.Lfunc_end105:
	.size	_Z18kQuantizeBlockwiseI6__halfLi1024ELi4ELi0ELi1EEvPfPT_S1_PhS1_ii, .Lfunc_end105-_Z18kQuantizeBlockwiseI6__halfLi1024ELi4ELi0ELi1EEvPfPT_S1_PhS1_ii
                                        ; -- End function
	.section	.AMDGPU.csdata,"",@progbits
; Kernel info:
; codeLenInByte = 3016
; NumSgprs: 18
; NumVgprs: 48
; ScratchSize: 0
; MemoryBound: 0
; FloatMode: 240
; IeeeMode: 1
; LDSByteSize: 2676 bytes/workgroup (compile time only)
; SGPRBlocks: 2
; VGPRBlocks: 5
; NumSGPRsForWavesPerEU: 18
; NumVGPRsForWavesPerEU: 48
; Occupancy: 16
; WaveLimiterHint : 0
; COMPUTE_PGM_RSRC2:SCRATCH_EN: 0
; COMPUTE_PGM_RSRC2:USER_SGPR: 15
; COMPUTE_PGM_RSRC2:TRAP_HANDLER: 0
; COMPUTE_PGM_RSRC2:TGID_X_EN: 1
; COMPUTE_PGM_RSRC2:TGID_Y_EN: 0
; COMPUTE_PGM_RSRC2:TGID_Z_EN: 0
; COMPUTE_PGM_RSRC2:TIDIG_COMP_CNT: 0
	.section	.text._Z18kQuantizeBlockwiseI6__halfLi512ELi2ELi0ELi1EEvPfPT_S1_PhS1_ii,"axG",@progbits,_Z18kQuantizeBlockwiseI6__halfLi512ELi2ELi0ELi1EEvPfPT_S1_PhS1_ii,comdat
